;; amdgpu-corpus repo=ROCm/rocFFT kind=compiled arch=gfx950 opt=O3
	.text
	.amdgcn_target "amdgcn-amd-amdhsa--gfx950"
	.amdhsa_code_object_version 6
	.protected	fft_rtc_back_len200_factors_10_10_2_wgs_60_tpt_20_halfLds_half_ip_CI_sbrr_dirReg ; -- Begin function fft_rtc_back_len200_factors_10_10_2_wgs_60_tpt_20_halfLds_half_ip_CI_sbrr_dirReg
	.globl	fft_rtc_back_len200_factors_10_10_2_wgs_60_tpt_20_halfLds_half_ip_CI_sbrr_dirReg
	.p2align	8
	.type	fft_rtc_back_len200_factors_10_10_2_wgs_60_tpt_20_halfLds_half_ip_CI_sbrr_dirReg,@function
fft_rtc_back_len200_factors_10_10_2_wgs_60_tpt_20_halfLds_half_ip_CI_sbrr_dirReg: ; @fft_rtc_back_len200_factors_10_10_2_wgs_60_tpt_20_halfLds_half_ip_CI_sbrr_dirReg
; %bb.0:
	s_load_dwordx2 s[12:13], s[0:1], 0x18
	s_load_dwordx4 s[4:7], s[0:1], 0x0
	s_load_dwordx2 s[10:11], s[0:1], 0x50
	v_mul_u32_u24_e32 v1, 0xccd, v0
	v_lshrrev_b32_e32 v2, 16, v1
	s_waitcnt lgkmcnt(0)
	s_load_dwordx2 s[8:9], s[12:13], 0x0
	v_mad_u64_u32 v[16:17], s[2:3], s2, 3, v[2:3]
	v_mov_b32_e32 v4, 0
	v_mov_b32_e32 v17, v4
	v_cmp_lt_u64_e64 s[2:3], s[6:7], 2
	s_and_b64 vcc, exec, s[2:3]
	v_mov_b64_e32 v[2:3], 0
	v_mov_b64_e32 v[8:9], v[16:17]
	s_cbranch_vccnz .LBB0_8
; %bb.1:
	s_load_dwordx2 s[2:3], s[0:1], 0x10
	s_add_u32 s14, s12, 8
	s_addc_u32 s15, s13, 0
	s_mov_b64 s[16:17], 1
	v_mov_b64_e32 v[2:3], 0
	s_waitcnt lgkmcnt(0)
	s_add_u32 s18, s2, 8
	s_addc_u32 s19, s3, 0
	v_mov_b64_e32 v[6:7], v[16:17]
.LBB0_2:                                ; =>This Inner Loop Header: Depth=1
	s_load_dwordx2 s[20:21], s[18:19], 0x0
                                        ; implicit-def: $vgpr8_vgpr9
	s_waitcnt lgkmcnt(0)
	v_or_b32_e32 v5, s21, v7
	v_cmp_ne_u64_e32 vcc, 0, v[4:5]
	s_and_saveexec_b64 s[2:3], vcc
	s_xor_b64 s[22:23], exec, s[2:3]
	s_cbranch_execz .LBB0_4
; %bb.3:                                ;   in Loop: Header=BB0_2 Depth=1
	v_cvt_f32_u32_e32 v1, s20
	v_cvt_f32_u32_e32 v5, s21
	s_sub_u32 s2, 0, s20
	s_subb_u32 s3, 0, s21
	v_fmac_f32_e32 v1, 0x4f800000, v5
	v_rcp_f32_e32 v1, v1
	s_nop 0
	v_mul_f32_e32 v1, 0x5f7ffffc, v1
	v_mul_f32_e32 v5, 0x2f800000, v1
	v_trunc_f32_e32 v5, v5
	v_fmac_f32_e32 v1, 0xcf800000, v5
	v_cvt_u32_f32_e32 v5, v5
	v_cvt_u32_f32_e32 v1, v1
	v_mul_lo_u32 v8, s2, v5
	v_mul_hi_u32 v10, s2, v1
	v_mul_lo_u32 v9, s3, v1
	v_add_u32_e32 v10, v10, v8
	v_mul_lo_u32 v12, s2, v1
	v_add_u32_e32 v13, v10, v9
	v_mul_hi_u32 v8, v1, v12
	v_mul_hi_u32 v11, v1, v13
	v_mul_lo_u32 v10, v1, v13
	v_mov_b32_e32 v9, v4
	v_lshl_add_u64 v[8:9], v[8:9], 0, v[10:11]
	v_mul_hi_u32 v11, v5, v12
	v_mul_lo_u32 v12, v5, v12
	v_add_co_u32_e32 v8, vcc, v8, v12
	v_mul_hi_u32 v10, v5, v13
	s_nop 0
	v_addc_co_u32_e32 v8, vcc, v9, v11, vcc
	v_mov_b32_e32 v9, v4
	s_nop 0
	v_addc_co_u32_e32 v11, vcc, 0, v10, vcc
	v_mul_lo_u32 v10, v5, v13
	v_lshl_add_u64 v[8:9], v[8:9], 0, v[10:11]
	v_add_co_u32_e32 v1, vcc, v1, v8
	v_mul_lo_u32 v10, s2, v1
	s_nop 0
	v_addc_co_u32_e32 v5, vcc, v5, v9, vcc
	v_mul_lo_u32 v8, s2, v5
	v_mul_hi_u32 v9, s2, v1
	v_add_u32_e32 v8, v9, v8
	v_mul_lo_u32 v9, s3, v1
	v_add_u32_e32 v12, v8, v9
	v_mul_hi_u32 v14, v5, v10
	v_mul_lo_u32 v15, v5, v10
	v_mul_hi_u32 v9, v1, v12
	v_mul_lo_u32 v8, v1, v12
	v_mul_hi_u32 v10, v1, v10
	v_mov_b32_e32 v11, v4
	v_lshl_add_u64 v[8:9], v[10:11], 0, v[8:9]
	v_add_co_u32_e32 v8, vcc, v8, v15
	v_mul_hi_u32 v13, v5, v12
	s_nop 0
	v_addc_co_u32_e32 v8, vcc, v9, v14, vcc
	v_mul_lo_u32 v10, v5, v12
	s_nop 0
	v_addc_co_u32_e32 v11, vcc, 0, v13, vcc
	v_mov_b32_e32 v9, v4
	v_lshl_add_u64 v[8:9], v[8:9], 0, v[10:11]
	v_add_co_u32_e32 v1, vcc, v1, v8
	v_mul_hi_u32 v10, v6, v1
	s_nop 0
	v_addc_co_u32_e32 v5, vcc, v5, v9, vcc
	v_mad_u64_u32 v[8:9], s[2:3], v6, v5, 0
	v_mov_b32_e32 v11, v4
	v_lshl_add_u64 v[8:9], v[10:11], 0, v[8:9]
	v_mad_u64_u32 v[12:13], s[2:3], v7, v1, 0
	v_add_co_u32_e32 v1, vcc, v8, v12
	v_mad_u64_u32 v[10:11], s[2:3], v7, v5, 0
	s_nop 0
	v_addc_co_u32_e32 v8, vcc, v9, v13, vcc
	v_mov_b32_e32 v9, v4
	s_nop 0
	v_addc_co_u32_e32 v11, vcc, 0, v11, vcc
	v_lshl_add_u64 v[8:9], v[8:9], 0, v[10:11]
	v_mul_lo_u32 v1, s21, v8
	v_mul_lo_u32 v5, s20, v9
	v_mad_u64_u32 v[10:11], s[2:3], s20, v8, 0
	v_add3_u32 v1, v11, v5, v1
	v_sub_u32_e32 v5, v7, v1
	v_mov_b32_e32 v11, s21
	v_sub_co_u32_e32 v14, vcc, v6, v10
	v_lshl_add_u64 v[12:13], v[8:9], 0, 1
	s_nop 0
	v_subb_co_u32_e64 v5, s[2:3], v5, v11, vcc
	v_subrev_co_u32_e64 v10, s[2:3], s20, v14
	v_subb_co_u32_e32 v1, vcc, v7, v1, vcc
	s_nop 0
	v_subbrev_co_u32_e64 v5, s[2:3], 0, v5, s[2:3]
	v_cmp_le_u32_e64 s[2:3], s21, v5
	v_cmp_le_u32_e32 vcc, s21, v1
	s_nop 0
	v_cndmask_b32_e64 v11, 0, -1, s[2:3]
	v_cmp_le_u32_e64 s[2:3], s20, v10
	s_nop 1
	v_cndmask_b32_e64 v10, 0, -1, s[2:3]
	v_cmp_eq_u32_e64 s[2:3], s21, v5
	s_nop 1
	v_cndmask_b32_e64 v5, v11, v10, s[2:3]
	v_lshl_add_u64 v[10:11], v[8:9], 0, 2
	v_cmp_ne_u32_e64 s[2:3], 0, v5
	s_nop 1
	v_cndmask_b32_e64 v5, v13, v11, s[2:3]
	v_cndmask_b32_e64 v11, 0, -1, vcc
	v_cmp_le_u32_e32 vcc, s20, v14
	s_nop 1
	v_cndmask_b32_e64 v13, 0, -1, vcc
	v_cmp_eq_u32_e32 vcc, s21, v1
	s_nop 1
	v_cndmask_b32_e32 v1, v11, v13, vcc
	v_cmp_ne_u32_e32 vcc, 0, v1
	v_cndmask_b32_e64 v1, v12, v10, s[2:3]
	s_nop 0
	v_cndmask_b32_e32 v9, v9, v5, vcc
	v_cndmask_b32_e32 v8, v8, v1, vcc
.LBB0_4:                                ;   in Loop: Header=BB0_2 Depth=1
	s_andn2_saveexec_b64 s[2:3], s[22:23]
	s_cbranch_execz .LBB0_6
; %bb.5:                                ;   in Loop: Header=BB0_2 Depth=1
	v_cvt_f32_u32_e32 v1, s20
	s_sub_i32 s22, 0, s20
	v_rcp_iflag_f32_e32 v1, v1
	s_nop 0
	v_mul_f32_e32 v1, 0x4f7ffffe, v1
	v_cvt_u32_f32_e32 v1, v1
	v_mul_lo_u32 v5, s22, v1
	v_mul_hi_u32 v5, v1, v5
	v_add_u32_e32 v1, v1, v5
	v_mul_hi_u32 v1, v6, v1
	v_mul_lo_u32 v5, v1, s20
	v_sub_u32_e32 v5, v6, v5
	v_add_u32_e32 v8, 1, v1
	v_subrev_u32_e32 v9, s20, v5
	v_cmp_le_u32_e32 vcc, s20, v5
	s_nop 1
	v_cndmask_b32_e32 v5, v5, v9, vcc
	v_cndmask_b32_e32 v1, v1, v8, vcc
	v_add_u32_e32 v8, 1, v1
	v_cmp_le_u32_e32 vcc, s20, v5
	v_mov_b32_e32 v9, v4
	s_nop 0
	v_cndmask_b32_e32 v8, v1, v8, vcc
.LBB0_6:                                ;   in Loop: Header=BB0_2 Depth=1
	s_or_b64 exec, exec, s[2:3]
	v_mad_u64_u32 v[10:11], s[2:3], v8, s20, 0
	s_load_dwordx2 s[2:3], s[14:15], 0x0
	v_mul_lo_u32 v1, v9, s20
	v_mul_lo_u32 v5, v8, s21
	v_add3_u32 v1, v11, v5, v1
	v_sub_co_u32_e32 v5, vcc, v6, v10
	s_add_u32 s16, s16, 1
	s_nop 0
	v_subb_co_u32_e32 v1, vcc, v7, v1, vcc
	s_addc_u32 s17, s17, 0
	s_waitcnt lgkmcnt(0)
	v_mul_lo_u32 v1, s2, v1
	v_mul_lo_u32 v6, s3, v5
	v_mad_u64_u32 v[2:3], s[2:3], s2, v5, v[2:3]
	s_add_u32 s14, s14, 8
	v_add3_u32 v3, v6, v3, v1
	s_addc_u32 s15, s15, 0
	v_mov_b64_e32 v[6:7], s[6:7]
	s_add_u32 s18, s18, 8
	v_cmp_ge_u64_e32 vcc, s[16:17], v[6:7]
	s_addc_u32 s19, s19, 0
	s_cbranch_vccnz .LBB0_8
; %bb.7:                                ;   in Loop: Header=BB0_2 Depth=1
	v_mov_b64_e32 v[6:7], v[8:9]
	s_branch .LBB0_2
.LBB0_8:
	s_lshl_b64 s[2:3], s[6:7], 3
	s_add_u32 s2, s12, s2
	s_addc_u32 s3, s13, s3
	s_load_dwordx2 s[6:7], s[2:3], 0x0
	s_load_dwordx2 s[12:13], s[0:1], 0x20
	s_mov_b32 s2, 0xccccccd
                                        ; implicit-def: $vgpr10
                                        ; implicit-def: $vgpr12
                                        ; implicit-def: $vgpr14
	s_waitcnt lgkmcnt(0)
	v_mul_lo_u32 v1, s6, v9
	v_mul_lo_u32 v6, s7, v8
	v_mad_u64_u32 v[4:5], s[0:1], s6, v8, v[2:3]
	v_add3_u32 v5, v6, v5, v1
	v_mul_hi_u32 v1, v0, s2
	v_mul_u32_u24_e32 v1, 20, v1
	v_sub_u32_e32 v0, v0, v1
	v_cmp_gt_u64_e32 vcc, s[12:13], v[8:9]
	v_cmp_le_u64_e64 s[0:1], s[12:13], v[8:9]
	v_add_u32_e32 v3, 20, v0
	v_add_u32_e32 v6, 40, v0
	;; [unrolled: 1-line block ×3, first 2 shown]
                                        ; implicit-def: $vgpr8
	s_and_saveexec_b64 s[2:3], s[0:1]
	s_xor_b64 s[0:1], exec, s[2:3]
; %bb.9:
	v_add_u32_e32 v10, 20, v0
	v_add_u32_e32 v12, 40, v0
	;; [unrolled: 1-line block ×4, first 2 shown]
; %bb.10:
	s_or_saveexec_b64 s[0:1], s[0:1]
	v_lshl_add_u64 v[4:5], v[4:5], 2, s[10:11]
                                        ; implicit-def: $vgpr25
                                        ; implicit-def: $vgpr23
                                        ; implicit-def: $vgpr13
                                        ; implicit-def: $vgpr9
                                        ; implicit-def: $vgpr26
                                        ; implicit-def: $vgpr21
                                        ; implicit-def: $vgpr15
                                        ; implicit-def: $vgpr1
                                        ; implicit-def: $vgpr27
                                        ; implicit-def: $vgpr22
                                        ; implicit-def: $vgpr17
                                        ; implicit-def: $vgpr7
                                        ; implicit-def: $vgpr28
                                        ; implicit-def: $vgpr24
                                        ; implicit-def: $vgpr18
                                        ; implicit-def: $vgpr11
                                        ; implicit-def: $vgpr29
                                        ; implicit-def: $vgpr30
                                        ; implicit-def: $vgpr19
                                        ; implicit-def: $vgpr20
	s_xor_b64 exec, exec, s[0:1]
	s_cbranch_execz .LBB0_12
; %bb.11:
	v_mad_u64_u32 v[8:9], s[2:3], s8, v0, 0
	v_mov_b32_e32 v10, v9
	v_mad_u64_u32 v[10:11], s[2:3], s9, v0, v[10:11]
	v_mov_b32_e32 v9, v10
	v_lshl_add_u64 v[12:13], v[8:9], 2, v[4:5]
	v_mad_u64_u32 v[8:9], s[2:3], s8, v3, 0
	v_mov_b32_e32 v10, v9
	v_mad_u64_u32 v[10:11], s[2:3], s9, v3, v[10:11]
	v_mov_b32_e32 v9, v10
	v_lshl_add_u64 v[14:15], v[8:9], 2, v[4:5]
	;; [unrolled: 5-line block ×4, first 2 shown]
	v_add_u32_e32 v8, 0x50, v0
	v_mad_u64_u32 v[10:11], s[2:3], s8, v8, 0
	v_mov_b32_e32 v20, v11
	v_mad_u64_u32 v[20:21], s[2:3], s9, v8, v[20:21]
	v_mov_b32_e32 v11, v20
	v_add_u32_e32 v1, 0x64, v0
	v_lshl_add_u64 v[28:29], v[10:11], 2, v[4:5]
	v_mad_u64_u32 v[10:11], s[2:3], s8, v1, 0
	v_mov_b32_e32 v20, v11
	v_mad_u64_u32 v[20:21], s[2:3], s9, v1, v[20:21]
	v_mov_b32_e32 v11, v20
	v_add_u32_e32 v1, 0x78, v0
	v_lshl_add_u64 v[30:31], v[10:11], 2, v[4:5]
	;; [unrolled: 6-line block ×3, first 2 shown]
	v_mad_u64_u32 v[10:11], s[2:3], s8, v1, 0
	v_mov_b32_e32 v20, v11
	v_mad_u64_u32 v[20:21], s[2:3], s9, v1, v[20:21]
	v_mov_b32_e32 v11, v20
	v_lshl_add_u64 v[34:35], v[10:11], 2, v[4:5]
	global_load_dword v23, v[12:13], off
	global_load_dword v9, v[14:15], off
	;; [unrolled: 1-line block ×8, first 2 shown]
	v_or_b32_e32 v14, 0xa0, v0
	v_mad_u64_u32 v[12:13], s[2:3], s8, v14, 0
	v_mov_b32_e32 v10, v13
	v_add_u32_e32 v17, 0xb4, v0
	s_waitcnt vmcnt(7)
	v_lshrrev_b32_e32 v25, 16, v23
	s_waitcnt vmcnt(5)
	v_lshrrev_b32_e32 v26, 16, v21
	;; [unrolled: 2-line block ×4, first 2 shown]
	s_waitcnt vmcnt(0)
	v_mad_u64_u32 v[14:15], s[2:3], s9, v14, v[10:11]
	v_mov_b32_e32 v13, v14
	v_mad_u64_u32 v[14:15], s[2:3], s8, v17, 0
	v_mov_b32_e32 v10, v15
	v_mad_u64_u32 v[18:19], s[2:3], s9, v17, v[10:11]
	v_lshl_add_u64 v[12:13], v[12:13], 2, v[4:5]
	v_mov_b32_e32 v15, v18
	v_lshl_add_u64 v[14:15], v[14:15], 2, v[4:5]
	global_load_dword v30, v[12:13], off
	global_load_dword v20, v[14:15], off
	v_lshrrev_b32_e32 v13, 16, v9
	v_lshrrev_b32_e32 v15, 16, v1
	;; [unrolled: 1-line block ×4, first 2 shown]
	v_mov_b32_e32 v14, v2
	v_mov_b32_e32 v12, v6
	;; [unrolled: 1-line block ×3, first 2 shown]
	s_waitcnt vmcnt(1)
	v_lshrrev_b32_e32 v29, 16, v30
	s_waitcnt vmcnt(0)
	v_lshrrev_b32_e32 v19, 16, v20
.LBB0_12:
	s_or_b64 exec, exec, s[0:1]
	v_add_f16_e32 v32, v22, v24
	s_mov_b32 s0, 0xaaaaaaab
	v_fma_f16 v32, v32, -0.5, v23
	v_sub_f16_e32 v33, v26, v29
	s_mov_b32 s10, 0xbb9c
	s_movk_i32 s3, 0x3b9c
	v_mul_hi_u32 v31, v16, s0
	v_fma_f16 v34, v33, s10, v32
	v_sub_f16_e32 v35, v27, v28
	s_mov_b32 s7, 0xb8b4
	v_sub_f16_e32 v36, v21, v22
	v_sub_f16_e32 v37, v30, v24
	v_fma_f16 v32, v33, s3, v32
	s_movk_i32 s2, 0x38b4
	v_lshrrev_b32_e32 v31, 1, v31
	v_fma_f16 v34, v35, s7, v34
	v_add_f16_e32 v36, v36, v37
	s_movk_i32 s6, 0x34f2
	v_fma_f16 v32, v35, s2, v32
	v_lshl_add_u32 v31, v31, 1, v31
	v_fma_f16 v34, v36, s6, v34
	v_fma_f16 v32, v36, s6, v32
	v_add_f16_e32 v36, v21, v30
	v_sub_u32_e32 v16, v16, v31
	v_add_f16_e32 v31, v23, v21
	v_fma_f16 v23, v36, -0.5, v23
	v_add_f16_e32 v31, v31, v22
	v_fma_f16 v36, v35, s3, v23
	v_fma_f16 v23, v35, s10, v23
	v_add_f16_e32 v35, v27, v28
	v_add_f16_e32 v31, v31, v24
	v_sub_f16_e32 v37, v22, v21
	v_sub_f16_e32 v38, v24, v30
	v_fma_f16 v35, v35, -0.5, v25
	v_sub_f16_e32 v21, v21, v30
	v_add_f16_e32 v31, v31, v30
	v_fma_f16 v36, v33, s7, v36
	v_add_f16_e32 v37, v37, v38
	v_fma_f16 v23, v33, s2, v23
	v_fma_f16 v30, v21, s3, v35
	v_sub_f16_e32 v22, v22, v24
	v_fma_f16 v36, v37, s6, v36
	v_fma_f16 v23, v37, s6, v23
	;; [unrolled: 1-line block ×3, first 2 shown]
	v_sub_f16_e32 v30, v26, v27
	v_sub_f16_e32 v37, v29, v28
	v_fma_f16 v35, v21, s10, v35
	v_add_f16_e32 v30, v30, v37
	v_fma_f16 v35, v22, s7, v35
	v_fma_f16 v24, v30, s6, v24
	;; [unrolled: 1-line block ×3, first 2 shown]
	v_add_f16_e32 v35, v26, v29
	v_add_f16_e32 v33, v25, v26
	v_fma_f16 v25, v35, -0.5, v25
	v_add_f16_e32 v33, v33, v27
	v_fma_f16 v35, v22, s10, v25
	v_sub_f16_e32 v26, v27, v26
	v_sub_f16_e32 v27, v28, v29
	v_fma_f16 v22, v22, s3, v25
	v_fma_f16 v35, v21, s2, v35
	v_add_f16_e32 v26, v26, v27
	v_fma_f16 v21, v21, s7, v22
	v_add_f16_e32 v25, v7, v11
	v_add_f16_e32 v33, v33, v28
	v_fma_f16 v27, v26, s6, v35
	v_fma_f16 v21, v26, s6, v21
	v_fma_f16 v25, v25, -0.5, v9
	v_sub_f16_e32 v26, v15, v19
	v_add_f16_e32 v33, v33, v29
	v_fma_f16 v28, v26, s10, v25
	v_sub_f16_e32 v29, v17, v18
	v_sub_f16_e32 v35, v1, v7
	;; [unrolled: 1-line block ×3, first 2 shown]
	v_fma_f16 v25, v26, s3, v25
	v_fma_f16 v28, v29, s7, v28
	v_add_f16_e32 v35, v35, v37
	v_fma_f16 v25, v29, s2, v25
	v_fma_f16 v28, v35, s6, v28
	;; [unrolled: 1-line block ×3, first 2 shown]
	v_add_f16_e32 v35, v1, v20
	v_add_f16_e32 v22, v9, v1
	v_fma_f16 v9, v35, -0.5, v9
	v_add_f16_e32 v22, v22, v7
	v_fma_f16 v35, v29, s3, v9
	v_fma_f16 v9, v29, s10, v9
	v_add_f16_e32 v29, v17, v18
	v_add_f16_e32 v22, v22, v11
	v_sub_f16_e32 v37, v7, v1
	v_sub_f16_e32 v38, v11, v20
	v_fma_f16 v29, v29, -0.5, v13
	v_sub_f16_e32 v1, v1, v20
	v_add_f16_e32 v22, v22, v20
	v_fma_f16 v35, v26, s7, v35
	v_add_f16_e32 v37, v37, v38
	v_fma_f16 v9, v26, s2, v9
	v_fma_f16 v20, v1, s3, v29
	v_sub_f16_e32 v7, v7, v11
	v_fma_f16 v35, v37, s6, v35
	v_fma_f16 v9, v37, s6, v9
	;; [unrolled: 1-line block ×3, first 2 shown]
	v_sub_f16_e32 v20, v15, v17
	v_sub_f16_e32 v37, v19, v18
	v_fma_f16 v29, v1, s10, v29
	v_add_f16_e32 v20, v20, v37
	v_fma_f16 v29, v7, s7, v29
	v_fma_f16 v11, v20, s6, v11
	;; [unrolled: 1-line block ×3, first 2 shown]
	v_add_f16_e32 v29, v15, v19
	v_add_f16_e32 v26, v13, v15
	v_fma_f16 v13, v29, -0.5, v13
	v_add_f16_e32 v26, v26, v17
	v_fma_f16 v29, v7, s10, v13
	v_sub_f16_e32 v15, v17, v15
	v_sub_f16_e32 v17, v18, v19
	v_fma_f16 v7, v7, s3, v13
	v_fma_f16 v29, v1, s2, v29
	v_add_f16_e32 v15, v15, v17
	v_fma_f16 v1, v1, s7, v7
	v_fma_f16 v17, v15, s6, v29
	;; [unrolled: 1-line block ×3, first 2 shown]
	v_mul_f16_e32 v13, 0xb8b4, v11
	s_movk_i32 s11, 0x3a79
	v_mul_u32_u24_e32 v16, 0xc8, v16
	v_add_f16_e32 v26, v26, v18
	v_fma_f16 v13, v28, s11, v13
	v_mul_f16_e32 v18, 0xbb9c, v17
	v_mul_f16_e32 v29, 0xbb9c, v1
	s_mov_b32 s12, 0xb4f2
	v_mul_f16_e32 v38, 0xb8b4, v20
	v_mul_f16_e32 v11, 0x3a79, v11
	;; [unrolled: 1-line block ×3, first 2 shown]
	v_add_f16_e32 v15, v34, v13
	v_fma_f16 v18, v35, s6, v18
	v_fma_f16 v29, v9, s12, v29
	s_mov_b32 s13, 0xba79
	v_fma_f16 v11, v28, s2, v11
	v_mul_f16_e32 v35, 0x3b9c, v35
	v_fma_f16 v20, v25, s2, v20
	v_sub_f16_e32 v13, v34, v13
	v_lshlrev_b32_e32 v34, 1, v16
	v_add_f16_e32 v26, v26, v19
	v_add_f16_e32 v7, v31, v22
	;; [unrolled: 1-line block ×4, first 2 shown]
	v_fma_f16 v38, v25, s13, v38
	v_add_f16_e32 v28, v24, v11
	v_fma_f16 v17, v17, s6, v35
	v_add_f16_e32 v25, v30, v20
	v_sub_f16_e32 v11, v24, v11
	v_sub_f16_e32 v24, v30, v20
	v_mul_u32_u24_e32 v20, 10, v0
	v_add_u32_e32 v16, 0, v34
	v_add_f16_e32 v39, v32, v38
	v_add_f16_e32 v35, v27, v17
	v_mul_f16_e32 v1, 0xb4f2, v1
	v_sub_f16_e32 v22, v31, v22
	v_sub_f16_e32 v18, v36, v18
	;; [unrolled: 1-line block ×3, first 2 shown]
	v_lshl_add_u32 v27, v20, 1, v16
	v_pack_b32_f16 v19, v19, v37
	v_pack_b32_f16 v7, v7, v15
	v_fma_f16 v1, v9, s3, v1
	v_sub_f16_e32 v23, v23, v29
	v_sub_f16_e32 v29, v32, v38
	ds_write2_b32 v27, v7, v19 offset1:1
	v_pack_b32_f16 v7, v13, v18
	v_pack_b32_f16 v13, v39, v22
	v_add_f16_e32 v9, v21, v1
	v_sub_f16_e32 v1, v21, v1
	ds_write2_b32 v27, v13, v7 offset0:2 offset1:3
	v_pack_b32_f16 v7, v23, v29
	ds_write_b32 v27, v7 offset:16
	v_lshl_add_u32 v7, v0, 1, v16
	s_movk_i32 s0, 0xffee
	v_pack_b32_f16 v1, v1, v24
	v_add_f16_e32 v40, v33, v26
	s_waitcnt lgkmcnt(0)
	; wave barrier
	s_waitcnt lgkmcnt(0)
	v_lshl_add_u32 v18, v10, 1, v16
	v_lshl_add_u32 v19, v12, 1, v16
	;; [unrolled: 1-line block ×4, first 2 shown]
	v_mad_i32_i24 v22, v0, s0, v27
	ds_read_u16 v13, v7
	ds_read_u16 v15, v18
	;; [unrolled: 1-line block ×5, first 2 shown]
	ds_read_u16 v38, v22 offset:200
	ds_read_u16 v39, v22 offset:240
	;; [unrolled: 1-line block ×5, first 2 shown]
	s_waitcnt lgkmcnt(0)
	; wave barrier
	s_waitcnt lgkmcnt(0)
	ds_write_b32 v27, v1 offset:16
	v_add_u32_e32 v1, -10, v0
	v_cmp_gt_u32_e64 s[0:1], 10, v0
	v_pack_b32_f16 v9, v35, v9
	v_pack_b32_f16 v16, v40, v28
	v_cndmask_b32_e64 v1, v1, v0, s[0:1]
	v_sub_f16_e32 v26, v33, v26
	ds_write2_b32 v27, v16, v9 offset1:1
	v_pack_b32_f16 v9, v11, v17
	v_mul_i32_i24_e32 v16, 9, v1
	v_mov_b32_e32 v17, 0
	v_pack_b32_f16 v11, v25, v26
	v_lshl_add_u64 v[32:33], v[16:17], 2, s[4:5]
	ds_write2_b32 v27, v11, v9 offset0:2 offset1:3
	s_waitcnt lgkmcnt(0)
	; wave barrier
	s_waitcnt lgkmcnt(0)
	global_load_dwordx4 v[24:27], v[32:33], off
	global_load_dwordx4 v[28:31], v[32:33], off offset:16
	global_load_dword v9, v[32:33], off offset:32
	ds_read_u16 v11, v7
	ds_read_u16 v16, v18
	;; [unrolled: 1-line block ×5, first 2 shown]
	ds_read_u16 v40, v22 offset:200
	ds_read_u16 v44, v22 offset:240
	;; [unrolled: 1-line block ×5, first 2 shown]
	v_cmp_lt_u32_e64 s[0:1], 9, v0
	v_lshlrev_b32_e32 v1, 1, v1
	s_waitcnt lgkmcnt(0)
	; wave barrier
	s_waitcnt vmcnt(2) lgkmcnt(0)
	v_mul_f16_sdwa v48, v16, v24 dst_sel:DWORD dst_unused:UNUSED_PAD src0_sel:DWORD src1_sel:WORD_1
	v_fma_f16 v48, v15, v24, v48
	v_mul_f16_sdwa v15, v15, v24 dst_sel:DWORD dst_unused:UNUSED_PAD src0_sel:DWORD src1_sel:WORD_1
	v_fma_f16 v15, v16, v24, -v15
	v_mul_f16_sdwa v16, v32, v25 dst_sel:DWORD dst_unused:UNUSED_PAD src0_sel:DWORD src1_sel:WORD_1
	v_fma_f16 v16, v23, v25, v16
	v_mul_f16_sdwa v23, v23, v25 dst_sel:DWORD dst_unused:UNUSED_PAD src0_sel:DWORD src1_sel:WORD_1
	v_fma_f16 v23, v32, v25, -v23
	v_mul_f16_sdwa v24, v33, v26 dst_sel:DWORD dst_unused:UNUSED_PAD src0_sel:DWORD src1_sel:WORD_1
	v_mul_f16_sdwa v25, v36, v26 dst_sel:DWORD dst_unused:UNUSED_PAD src0_sel:DWORD src1_sel:WORD_1
	v_fma_f16 v24, v36, v26, v24
	v_fma_f16 v25, v33, v26, -v25
	v_mul_f16_sdwa v26, v35, v27 dst_sel:DWORD dst_unused:UNUSED_PAD src0_sel:DWORD src1_sel:WORD_1
	v_mul_f16_sdwa v32, v37, v27 dst_sel:DWORD dst_unused:UNUSED_PAD src0_sel:DWORD src1_sel:WORD_1
	v_fma_f16 v26, v37, v27, v26
	v_fma_f16 v27, v35, v27, -v32
	s_waitcnt vmcnt(1)
	v_mul_f16_sdwa v32, v40, v28 dst_sel:DWORD dst_unused:UNUSED_PAD src0_sel:DWORD src1_sel:WORD_1
	v_mul_f16_sdwa v33, v38, v28 dst_sel:DWORD dst_unused:UNUSED_PAD src0_sel:DWORD src1_sel:WORD_1
	v_fma_f16 v32, v38, v28, v32
	v_fma_f16 v28, v40, v28, -v33
	v_mul_f16_sdwa v33, v44, v29 dst_sel:DWORD dst_unused:UNUSED_PAD src0_sel:DWORD src1_sel:WORD_1
	v_mul_f16_sdwa v35, v39, v29 dst_sel:DWORD dst_unused:UNUSED_PAD src0_sel:DWORD src1_sel:WORD_1
	v_fma_f16 v33, v39, v29, v33
	v_fma_f16 v29, v44, v29, -v35
	;; [unrolled: 4-line block ×4, first 2 shown]
	v_add_f16_e32 v39, v26, v33
	s_waitcnt vmcnt(0)
	v_mul_f16_sdwa v37, v47, v9 dst_sel:DWORD dst_unused:UNUSED_PAD src0_sel:DWORD src1_sel:WORD_1
	v_fma_f16 v39, v39, -0.5, v13
	v_sub_f16_e32 v40, v23, v31
	v_fma_f16 v37, v43, v9, v37
	v_mul_f16_sdwa v38, v43, v9 dst_sel:DWORD dst_unused:UNUSED_PAD src0_sel:DWORD src1_sel:WORD_1
	v_fma_f16 v41, v40, s10, v39
	v_sub_f16_e32 v42, v27, v29
	v_sub_f16_e32 v43, v16, v26
	;; [unrolled: 1-line block ×3, first 2 shown]
	v_fma_f16 v39, v40, s3, v39
	v_fma_f16 v41, v42, s7, v41
	v_add_f16_e32 v43, v43, v44
	v_fma_f16 v39, v42, s2, v39
	v_fma_f16 v41, v43, s6, v41
	;; [unrolled: 1-line block ×3, first 2 shown]
	v_add_f16_e32 v43, v16, v36
	v_fma_f16 v9, v47, v9, -v38
	v_add_f16_e32 v38, v13, v16
	v_fma_f16 v13, v43, -0.5, v13
	v_add_f16_e32 v38, v38, v26
	v_fma_f16 v43, v42, s3, v13
	v_fma_f16 v13, v42, s10, v13
	v_add_f16_e32 v42, v27, v29
	v_add_f16_e32 v38, v38, v33
	v_sub_f16_e32 v44, v26, v16
	v_sub_f16_e32 v45, v33, v36
	v_fma_f16 v42, v42, -0.5, v11
	v_sub_f16_e32 v16, v16, v36
	v_add_f16_e32 v38, v38, v36
	v_fma_f16 v43, v40, s7, v43
	v_add_f16_e32 v44, v44, v45
	v_fma_f16 v13, v40, s2, v13
	v_fma_f16 v36, v16, s3, v42
	v_sub_f16_e32 v26, v26, v33
	v_fma_f16 v43, v44, s6, v43
	v_fma_f16 v13, v44, s6, v13
	;; [unrolled: 1-line block ×3, first 2 shown]
	v_sub_f16_e32 v36, v23, v27
	v_sub_f16_e32 v44, v31, v29
	v_fma_f16 v42, v16, s10, v42
	v_add_f16_e32 v36, v36, v44
	v_fma_f16 v42, v26, s7, v42
	v_fma_f16 v33, v36, s6, v33
	;; [unrolled: 1-line block ×3, first 2 shown]
	v_add_f16_e32 v42, v23, v31
	v_add_f16_e32 v40, v11, v23
	v_fma_f16 v11, v42, -0.5, v11
	v_add_f16_e32 v40, v40, v27
	v_fma_f16 v42, v26, s10, v11
	v_sub_f16_e32 v23, v27, v23
	v_sub_f16_e32 v27, v29, v31
	v_fma_f16 v11, v26, s3, v11
	v_fma_f16 v42, v16, s2, v42
	v_add_f16_e32 v23, v23, v27
	v_fma_f16 v11, v16, s7, v11
	v_fma_f16 v27, v23, s6, v42
	;; [unrolled: 1-line block ×3, first 2 shown]
	v_add_f16_e32 v23, v32, v35
	v_add_f16_e32 v40, v40, v29
	v_fma_f16 v23, v23, -0.5, v48
	v_sub_f16_e32 v26, v25, v9
	v_add_f16_e32 v40, v40, v31
	v_fma_f16 v29, v26, s10, v23
	v_sub_f16_e32 v31, v28, v30
	v_sub_f16_e32 v42, v24, v32
	;; [unrolled: 1-line block ×3, first 2 shown]
	v_fma_f16 v23, v26, s3, v23
	v_fma_f16 v29, v31, s7, v29
	v_add_f16_e32 v42, v42, v44
	v_fma_f16 v23, v31, s2, v23
	v_fma_f16 v29, v42, s6, v29
	;; [unrolled: 1-line block ×3, first 2 shown]
	v_add_f16_e32 v42, v24, v37
	v_add_f16_e32 v16, v48, v24
	v_fma_f16 v42, v42, -0.5, v48
	v_add_f16_e32 v16, v16, v32
	v_fma_f16 v44, v31, s3, v42
	v_fma_f16 v31, v31, s10, v42
	v_add_f16_e32 v42, v28, v30
	v_add_f16_e32 v16, v16, v35
	v_sub_f16_e32 v45, v32, v24
	v_sub_f16_e32 v46, v35, v37
	v_fma_f16 v42, v42, -0.5, v15
	v_sub_f16_e32 v24, v24, v37
	v_add_f16_e32 v16, v16, v37
	v_fma_f16 v44, v26, s7, v44
	v_add_f16_e32 v45, v45, v46
	v_fma_f16 v26, v26, s2, v31
	v_fma_f16 v37, v24, s3, v42
	v_sub_f16_e32 v32, v32, v35
	v_fma_f16 v44, v45, s6, v44
	v_fma_f16 v26, v45, s6, v26
	;; [unrolled: 1-line block ×3, first 2 shown]
	v_sub_f16_e32 v37, v25, v28
	v_sub_f16_e32 v45, v9, v30
	v_fma_f16 v42, v24, s10, v42
	v_add_f16_e32 v31, v15, v25
	v_add_f16_e32 v37, v37, v45
	v_fma_f16 v42, v32, s7, v42
	v_add_f16_e32 v31, v31, v28
	v_fma_f16 v35, v37, s6, v35
	v_fma_f16 v37, v37, s6, v42
	v_add_f16_e32 v42, v25, v9
	v_add_f16_e32 v31, v31, v30
	v_fma_f16 v15, v42, -0.5, v15
	v_add_f16_e32 v31, v31, v9
	v_fma_f16 v42, v32, s10, v15
	v_sub_f16_e32 v25, v28, v25
	v_sub_f16_e32 v9, v30, v9
	v_fma_f16 v15, v32, s3, v15
	v_fma_f16 v42, v24, s2, v42
	v_add_f16_e32 v9, v25, v9
	v_fma_f16 v15, v24, s7, v15
	v_fma_f16 v25, v9, s6, v42
	;; [unrolled: 1-line block ×3, first 2 shown]
	v_mul_f16_e32 v42, 0xbb9c, v9
	v_mul_f16_e32 v9, 0xb4f2, v9
	v_fma_f16 v42, v26, s12, v42
	v_mul_f16_e32 v46, 0xb8b4, v37
	v_fma_f16 v9, v26, s3, v9
	;; [unrolled: 2-line block ×3, first 2 shown]
	v_fma_f16 v23, v23, s2, v26
	v_add_f16_e32 v49, v11, v9
	v_add_f16_e32 v37, v36, v23
	v_sub_f16_e32 v9, v11, v9
	v_sub_f16_e32 v11, v36, v23
	v_mov_b32_e32 v23, 0xc8
	v_mul_f16_e32 v24, 0xb8b4, v35
	v_mul_f16_e32 v30, 0xbb9c, v25
	v_cndmask_b32_e64 v23, 0, v23, s[0:1]
	v_fma_f16 v24, v29, s11, v24
	v_fma_f16 v30, v44, s6, v30
	v_mul_f16_e32 v35, 0x3a79, v35
	v_mul_f16_e32 v25, 0x34f2, v25
	v_add_u32_e32 v23, 0, v23
	v_add_f16_e32 v15, v38, v16
	v_add_f16_e32 v28, v41, v24
	;; [unrolled: 1-line block ×3, first 2 shown]
	v_fma_f16 v29, v29, s2, v35
	v_fma_f16 v25, v44, s3, v25
	v_sub_f16_e32 v16, v38, v16
	v_sub_f16_e32 v24, v41, v24
	;; [unrolled: 1-line block ×4, first 2 shown]
	v_add3_u32 v1, v23, v1, v34
	v_add_f16_e32 v45, v13, v42
	v_add_f16_e32 v47, v39, v46
	;; [unrolled: 1-line block ×5, first 2 shown]
	v_sub_f16_e32 v13, v13, v42
	v_sub_f16_e32 v38, v40, v31
	;; [unrolled: 1-line block ×4, first 2 shown]
	ds_write_b16 v1, v15
	ds_write_b16 v1, v28 offset:20
	ds_write_b16 v1, v32 offset:40
	;; [unrolled: 1-line block ×9, first 2 shown]
	s_waitcnt lgkmcnt(0)
	; wave barrier
	s_waitcnt lgkmcnt(0)
	ds_read_u16 v27, v22 offset:240
	ds_read_u16 v28, v22 offset:280
	ds_read_u16 v16, v7
	ds_read_u16 v23, v18
	;; [unrolled: 1-line block ×4, first 2 shown]
	ds_read_u16 v29, v22 offset:200
	ds_read_u16 v26, v21
	ds_read_u16 v30, v22 offset:320
	ds_read_u16 v31, v22 offset:360
	s_waitcnt lgkmcnt(0)
	; wave barrier
	s_waitcnt lgkmcnt(0)
	ds_write_b16 v1, v48
	ds_write_b16 v1, v35 offset:20
	ds_write_b16 v1, v44 offset:40
	;; [unrolled: 1-line block ×9, first 2 shown]
	s_waitcnt lgkmcnt(0)
	; wave barrier
	s_waitcnt lgkmcnt(0)
	s_and_saveexec_b64 s[0:1], vcc
	s_cbranch_execz .LBB0_14
; %bb.13:
	v_mov_b32_e32 v9, v17
	v_mov_b32_e32 v13, v17
	v_lshl_add_u64 v[8:9], v[8:9], 2, s[4:5]
	v_mov_b32_e32 v15, v17
	v_lshl_add_u64 v[12:13], v[12:13], 2, s[4:5]
	;; [unrolled: 2-line block ×3, first 2 shown]
	global_load_dword v32, v[8:9], off offset:360
	global_load_dword v33, v[12:13], off offset:360
	v_lshl_add_u64 v[8:9], v[10:11], 2, s[4:5]
	v_mov_b32_e32 v1, v17
	global_load_dword v15, v[14:15], off offset:360
	v_add_u32_e32 v38, 0x64, v0
	global_load_dword v17, v[8:9], off offset:360
	v_lshl_add_u64 v[8:9], v[0:1], 2, s[4:5]
	global_load_dword v1, v[8:9], off offset:360
	v_mad_u64_u32 v[8:9], s[0:1], s8, v0, 0
	v_mov_b32_e32 v10, v9
	v_mad_u64_u32 v[12:13], s[0:1], s8, v38, 0
	ds_read_u16 v34, v22 offset:360
	ds_read_u16 v35, v22 offset:320
	;; [unrolled: 1-line block ×5, first 2 shown]
	ds_read_u16 v21, v21
	ds_read_u16 v20, v20
	;; [unrolled: 1-line block ×5, first 2 shown]
	v_mad_u64_u32 v[10:11], s[0:1], s9, v0, v[10:11]
	v_mov_b32_e32 v14, v13
	v_mov_b32_e32 v9, v10
	v_lshl_add_u64 v[8:9], v[8:9], 2, v[4:5]
	s_mov_b32 s3, 0x51eb851f
	s_movk_i32 s2, 0x64
	s_waitcnt vmcnt(3)
	v_lshrrev_b32_e32 v39, 16, v33
	v_mul_f16_e32 v40, v28, v33
	v_mul_f16_e32 v28, v28, v39
	s_waitcnt vmcnt(2)
	v_mad_u64_u32 v[10:11], s[0:1], s9, v38, v[14:15]
	v_mov_b32_e32 v13, v10
	v_lshl_add_u64 v[10:11], v[12:13], 2, v[4:5]
	s_waitcnt vmcnt(0)
	v_lshrrev_b32_e32 v43, 16, v1
	v_lshrrev_b32_e32 v12, 16, v32
	v_mul_f16_e32 v13, v31, v32
	v_lshrrev_b32_e32 v14, 16, v15
	v_mul_f16_e32 v38, v30, v15
	;; [unrolled: 2-line block ×3, first 2 shown]
	v_mul_f16_e32 v29, v29, v43
	v_mul_f16_e32 v42, v27, v17
	s_waitcnt lgkmcnt(9)
	v_fma_f16 v13, v34, v12, v13
	v_mul_f16_e32 v12, v31, v12
	s_waitcnt lgkmcnt(8)
	v_fma_f16 v31, v35, v14, v38
	;; [unrolled: 3-line block ×3, first 2 shown]
	v_mul_f16_e32 v27, v27, v41
	v_fma_f16 v39, v36, v43, v44
	v_fma_f16 v1, v36, v1, -v29
	s_waitcnt lgkmcnt(5)
	v_fma_f16 v38, v22, v41, v42
	v_fma_f16 v17, v22, v17, -v27
	v_sub_f16_e32 v22, v16, v39
	s_waitcnt lgkmcnt(0)
	v_sub_f16_e32 v1, v7, v1
	v_fma_f16 v16, v16, 2.0, -v22
	v_fma_f16 v7, v7, 2.0, -v1
	v_pack_b32_f16 v7, v16, v7
	v_pack_b32_f16 v1, v22, v1
	global_store_dword v[8:9], v7, off
	global_store_dword v[10:11], v1, off
	v_mad_u64_u32 v[8:9], s[0:1], s8, v3, 0
	v_mov_b32_e32 v10, v9
	v_fma_f16 v14, v35, v15, -v14
	v_sub_f16_e32 v15, v24, v30
	v_sub_f16_e32 v30, v23, v38
	;; [unrolled: 1-line block ×3, first 2 shown]
	v_mad_u64_u32 v[10:11], s[0:1], s9, v3, v[10:11]
	v_fma_f16 v23, v23, 2.0, -v30
	v_fma_f16 v18, v18, 2.0, -v17
	v_mov_b32_e32 v9, v10
	v_lshl_add_u64 v[8:9], v[8:9], 2, v[4:5]
	v_pack_b32_f16 v1, v23, v18
	global_store_dword v[8:9], v1, off
	v_add_u32_e32 v1, 0x78, v0
	v_mad_u64_u32 v[8:9], s[0:1], s8, v1, 0
	v_mov_b32_e32 v10, v9
	v_mad_u64_u32 v[10:11], s[0:1], s9, v1, v[10:11]
	v_mov_b32_e32 v9, v10
	v_lshl_add_u64 v[8:9], v[8:9], 2, v[4:5]
	v_pack_b32_f16 v1, v30, v17
	global_store_dword v[8:9], v1, off
	v_mul_hi_u32 v1, v6, s3
	v_lshrrev_b32_e32 v1, 5, v1
	v_mad_u64_u32 v[6:7], s[0:1], v1, s2, v[6:7]
	v_mad_u64_u32 v[8:9], s[0:1], s8, v6, 0
	v_fma_f16 v28, v37, v33, -v28
	v_mov_b32_e32 v10, v9
	v_sub_f16_e32 v27, v19, v28
	v_mad_u64_u32 v[10:11], s[0:1], s9, v6, v[10:11]
	v_fma_f16 v24, v24, 2.0, -v15
	v_fma_f16 v19, v19, 2.0, -v27
	v_mov_b32_e32 v9, v10
	v_lshl_add_u64 v[8:9], v[8:9], 2, v[4:5]
	v_pack_b32_f16 v1, v24, v19
	global_store_dword v[8:9], v1, off
	v_add_u32_e32 v1, 0x64, v6
	v_mad_u64_u32 v[6:7], s[0:1], s8, v1, 0
	v_mov_b32_e32 v8, v7
	v_mad_u64_u32 v[8:9], s[0:1], s9, v1, v[8:9]
	v_mov_b32_e32 v7, v8
	v_lshl_add_u64 v[6:7], v[6:7], 2, v[4:5]
	v_pack_b32_f16 v1, v15, v27
	global_store_dword v[6:7], v1, off
	v_mul_hi_u32 v1, v2, s3
	v_lshrrev_b32_e32 v1, 5, v1
	v_mad_u64_u32 v[2:3], s[0:1], v1, s2, v[2:3]
	v_mad_u64_u32 v[6:7], s[0:1], s8, v2, 0
	v_mov_b32_e32 v8, v7
	v_sub_f16_e32 v31, v25, v31
	v_sub_f16_e32 v14, v20, v14
	v_mad_u64_u32 v[8:9], s[0:1], s9, v2, v[8:9]
	v_fma_f16 v25, v25, 2.0, -v31
	v_fma_f16 v20, v20, 2.0, -v14
	v_mov_b32_e32 v7, v8
	v_lshl_add_u64 v[6:7], v[6:7], 2, v[4:5]
	v_pack_b32_f16 v1, v25, v20
	global_store_dword v[6:7], v1, off
	v_add_u32_e32 v1, 0x64, v2
	v_mad_u64_u32 v[2:3], s[0:1], s8, v1, 0
	v_mov_b32_e32 v6, v3
	v_mad_u64_u32 v[6:7], s[0:1], s9, v1, v[6:7]
	v_mov_b32_e32 v3, v6
	v_lshl_add_u64 v[2:3], v[2:3], 2, v[4:5]
	v_pack_b32_f16 v1, v31, v14
	v_add_u32_e32 v0, 0x50, v0
	global_store_dword v[2:3], v1, off
	v_mul_hi_u32 v1, v0, s3
	v_lshrrev_b32_e32 v1, 5, v1
	v_mad_u64_u32 v[0:1], s[0:1], v1, s2, v[0:1]
	v_mad_u64_u32 v[2:3], s[0:1], s8, v0, 0
	v_fma_f16 v12, v34, v32, -v12
	v_mov_b32_e32 v6, v3
	v_sub_f16_e32 v13, v26, v13
	v_sub_f16_e32 v12, v21, v12
	v_mad_u64_u32 v[6:7], s[0:1], s9, v0, v[6:7]
	v_fma_f16 v26, v26, 2.0, -v13
	v_fma_f16 v21, v21, 2.0, -v12
	v_mov_b32_e32 v3, v6
	v_lshl_add_u64 v[2:3], v[2:3], 2, v[4:5]
	v_pack_b32_f16 v1, v26, v21
	global_store_dword v[2:3], v1, off
	v_add_u32_e32 v3, 0x64, v0
	v_mad_u64_u32 v[0:1], s[0:1], s8, v3, 0
	v_mov_b32_e32 v2, v1
	v_mad_u64_u32 v[2:3], s[0:1], s9, v3, v[2:3]
	v_mov_b32_e32 v1, v2
	v_lshl_add_u64 v[0:1], v[0:1], 2, v[4:5]
	v_pack_b32_f16 v2, v13, v12
	global_store_dword v[0:1], v2, off
.LBB0_14:
	s_endpgm
	.section	.rodata,"a",@progbits
	.p2align	6, 0x0
	.amdhsa_kernel fft_rtc_back_len200_factors_10_10_2_wgs_60_tpt_20_halfLds_half_ip_CI_sbrr_dirReg
		.amdhsa_group_segment_fixed_size 0
		.amdhsa_private_segment_fixed_size 0
		.amdhsa_kernarg_size 88
		.amdhsa_user_sgpr_count 2
		.amdhsa_user_sgpr_dispatch_ptr 0
		.amdhsa_user_sgpr_queue_ptr 0
		.amdhsa_user_sgpr_kernarg_segment_ptr 1
		.amdhsa_user_sgpr_dispatch_id 0
		.amdhsa_user_sgpr_kernarg_preload_length 0
		.amdhsa_user_sgpr_kernarg_preload_offset 0
		.amdhsa_user_sgpr_private_segment_size 0
		.amdhsa_uses_dynamic_stack 0
		.amdhsa_enable_private_segment 0
		.amdhsa_system_sgpr_workgroup_id_x 1
		.amdhsa_system_sgpr_workgroup_id_y 0
		.amdhsa_system_sgpr_workgroup_id_z 0
		.amdhsa_system_sgpr_workgroup_info 0
		.amdhsa_system_vgpr_workitem_id 0
		.amdhsa_next_free_vgpr 50
		.amdhsa_next_free_sgpr 24
		.amdhsa_accum_offset 52
		.amdhsa_reserve_vcc 1
		.amdhsa_float_round_mode_32 0
		.amdhsa_float_round_mode_16_64 0
		.amdhsa_float_denorm_mode_32 3
		.amdhsa_float_denorm_mode_16_64 3
		.amdhsa_dx10_clamp 1
		.amdhsa_ieee_mode 1
		.amdhsa_fp16_overflow 0
		.amdhsa_tg_split 0
		.amdhsa_exception_fp_ieee_invalid_op 0
		.amdhsa_exception_fp_denorm_src 0
		.amdhsa_exception_fp_ieee_div_zero 0
		.amdhsa_exception_fp_ieee_overflow 0
		.amdhsa_exception_fp_ieee_underflow 0
		.amdhsa_exception_fp_ieee_inexact 0
		.amdhsa_exception_int_div_zero 0
	.end_amdhsa_kernel
	.text
.Lfunc_end0:
	.size	fft_rtc_back_len200_factors_10_10_2_wgs_60_tpt_20_halfLds_half_ip_CI_sbrr_dirReg, .Lfunc_end0-fft_rtc_back_len200_factors_10_10_2_wgs_60_tpt_20_halfLds_half_ip_CI_sbrr_dirReg
                                        ; -- End function
	.section	.AMDGPU.csdata,"",@progbits
; Kernel info:
; codeLenInByte = 5780
; NumSgprs: 30
; NumVgprs: 50
; NumAgprs: 0
; TotalNumVgprs: 50
; ScratchSize: 0
; MemoryBound: 0
; FloatMode: 240
; IeeeMode: 1
; LDSByteSize: 0 bytes/workgroup (compile time only)
; SGPRBlocks: 3
; VGPRBlocks: 6
; NumSGPRsForWavesPerEU: 30
; NumVGPRsForWavesPerEU: 50
; AccumOffset: 52
; Occupancy: 8
; WaveLimiterHint : 1
; COMPUTE_PGM_RSRC2:SCRATCH_EN: 0
; COMPUTE_PGM_RSRC2:USER_SGPR: 2
; COMPUTE_PGM_RSRC2:TRAP_HANDLER: 0
; COMPUTE_PGM_RSRC2:TGID_X_EN: 1
; COMPUTE_PGM_RSRC2:TGID_Y_EN: 0
; COMPUTE_PGM_RSRC2:TGID_Z_EN: 0
; COMPUTE_PGM_RSRC2:TIDIG_COMP_CNT: 0
; COMPUTE_PGM_RSRC3_GFX90A:ACCUM_OFFSET: 12
; COMPUTE_PGM_RSRC3_GFX90A:TG_SPLIT: 0
	.text
	.p2alignl 6, 3212836864
	.fill 256, 4, 3212836864
	.type	__hip_cuid_b4f7b9f45903b950,@object ; @__hip_cuid_b4f7b9f45903b950
	.section	.bss,"aw",@nobits
	.globl	__hip_cuid_b4f7b9f45903b950
__hip_cuid_b4f7b9f45903b950:
	.byte	0                               ; 0x0
	.size	__hip_cuid_b4f7b9f45903b950, 1

	.ident	"AMD clang version 19.0.0git (https://github.com/RadeonOpenCompute/llvm-project roc-6.4.0 25133 c7fe45cf4b819c5991fe208aaa96edf142730f1d)"
	.section	".note.GNU-stack","",@progbits
	.addrsig
	.addrsig_sym __hip_cuid_b4f7b9f45903b950
	.amdgpu_metadata
---
amdhsa.kernels:
  - .agpr_count:     0
    .args:
      - .actual_access:  read_only
        .address_space:  global
        .offset:         0
        .size:           8
        .value_kind:     global_buffer
      - .offset:         8
        .size:           8
        .value_kind:     by_value
      - .actual_access:  read_only
        .address_space:  global
        .offset:         16
        .size:           8
        .value_kind:     global_buffer
      - .actual_access:  read_only
        .address_space:  global
        .offset:         24
        .size:           8
        .value_kind:     global_buffer
      - .offset:         32
        .size:           8
        .value_kind:     by_value
      - .actual_access:  read_only
        .address_space:  global
        .offset:         40
        .size:           8
        .value_kind:     global_buffer
      - .actual_access:  read_only
        .address_space:  global
        .offset:         48
        .size:           8
        .value_kind:     global_buffer
      - .offset:         56
        .size:           4
        .value_kind:     by_value
      - .actual_access:  read_only
        .address_space:  global
        .offset:         64
        .size:           8
        .value_kind:     global_buffer
      - .actual_access:  read_only
        .address_space:  global
        .offset:         72
        .size:           8
        .value_kind:     global_buffer
      - .address_space:  global
        .offset:         80
        .size:           8
        .value_kind:     global_buffer
    .group_segment_fixed_size: 0
    .kernarg_segment_align: 8
    .kernarg_segment_size: 88
    .language:       OpenCL C
    .language_version:
      - 2
      - 0
    .max_flat_workgroup_size: 60
    .name:           fft_rtc_back_len200_factors_10_10_2_wgs_60_tpt_20_halfLds_half_ip_CI_sbrr_dirReg
    .private_segment_fixed_size: 0
    .sgpr_count:     30
    .sgpr_spill_count: 0
    .symbol:         fft_rtc_back_len200_factors_10_10_2_wgs_60_tpt_20_halfLds_half_ip_CI_sbrr_dirReg.kd
    .uniform_work_group_size: 1
    .uses_dynamic_stack: false
    .vgpr_count:     50
    .vgpr_spill_count: 0
    .wavefront_size: 64
amdhsa.target:   amdgcn-amd-amdhsa--gfx950
amdhsa.version:
  - 1
  - 2
...

	.end_amdgpu_metadata
